;; amdgpu-corpus repo=ROCm/rocFFT kind=compiled arch=gfx906 opt=O3
	.text
	.amdgcn_target "amdgcn-amd-amdhsa--gfx906"
	.amdhsa_code_object_version 6
	.protected	fft_rtc_back_len672_factors_2_2_2_2_2_3_7_wgs_56_tpt_56_halfLds_dp_ip_CI_unitstride_sbrr_C2R_dirReg ; -- Begin function fft_rtc_back_len672_factors_2_2_2_2_2_3_7_wgs_56_tpt_56_halfLds_dp_ip_CI_unitstride_sbrr_C2R_dirReg
	.globl	fft_rtc_back_len672_factors_2_2_2_2_2_3_7_wgs_56_tpt_56_halfLds_dp_ip_CI_unitstride_sbrr_C2R_dirReg
	.p2align	8
	.type	fft_rtc_back_len672_factors_2_2_2_2_2_3_7_wgs_56_tpt_56_halfLds_dp_ip_CI_unitstride_sbrr_C2R_dirReg,@function
fft_rtc_back_len672_factors_2_2_2_2_2_3_7_wgs_56_tpt_56_halfLds_dp_ip_CI_unitstride_sbrr_C2R_dirReg: ; @fft_rtc_back_len672_factors_2_2_2_2_2_3_7_wgs_56_tpt_56_halfLds_dp_ip_CI_unitstride_sbrr_C2R_dirReg
; %bb.0:
	s_load_dwordx2 s[2:3], s[4:5], 0x50
	s_load_dwordx4 s[8:11], s[4:5], 0x0
	s_load_dwordx2 s[12:13], s[4:5], 0x18
	v_mul_u32_u24_e32 v1, 0x493, v0
	v_add_u32_sdwa v5, s6, v1 dst_sel:DWORD dst_unused:UNUSED_PAD src0_sel:DWORD src1_sel:WORD_1
	v_mov_b32_e32 v3, 0
	s_waitcnt lgkmcnt(0)
	v_cmp_lt_u64_e64 s[0:1], s[10:11], 2
	v_mov_b32_e32 v1, 0
	v_mov_b32_e32 v6, v3
	s_and_b64 vcc, exec, s[0:1]
	v_mov_b32_e32 v2, 0
	s_cbranch_vccnz .LBB0_8
; %bb.1:
	s_load_dwordx2 s[0:1], s[4:5], 0x10
	s_add_u32 s6, s12, 8
	s_addc_u32 s7, s13, 0
	v_mov_b32_e32 v1, 0
	v_mov_b32_e32 v2, 0
	s_waitcnt lgkmcnt(0)
	s_add_u32 s14, s0, 8
	s_addc_u32 s15, s1, 0
	s_mov_b64 s[16:17], 1
.LBB0_2:                                ; =>This Inner Loop Header: Depth=1
	s_load_dwordx2 s[18:19], s[14:15], 0x0
                                        ; implicit-def: $vgpr7_vgpr8
	s_waitcnt lgkmcnt(0)
	v_or_b32_e32 v4, s19, v6
	v_cmp_ne_u64_e32 vcc, 0, v[3:4]
	s_and_saveexec_b64 s[0:1], vcc
	s_xor_b64 s[20:21], exec, s[0:1]
	s_cbranch_execz .LBB0_4
; %bb.3:                                ;   in Loop: Header=BB0_2 Depth=1
	v_cvt_f32_u32_e32 v4, s18
	v_cvt_f32_u32_e32 v7, s19
	s_sub_u32 s0, 0, s18
	s_subb_u32 s1, 0, s19
	v_mac_f32_e32 v4, 0x4f800000, v7
	v_rcp_f32_e32 v4, v4
	v_mul_f32_e32 v4, 0x5f7ffffc, v4
	v_mul_f32_e32 v7, 0x2f800000, v4
	v_trunc_f32_e32 v7, v7
	v_mac_f32_e32 v4, 0xcf800000, v7
	v_cvt_u32_f32_e32 v7, v7
	v_cvt_u32_f32_e32 v4, v4
	v_mul_lo_u32 v8, s0, v7
	v_mul_hi_u32 v9, s0, v4
	v_mul_lo_u32 v11, s1, v4
	v_mul_lo_u32 v10, s0, v4
	v_add_u32_e32 v8, v9, v8
	v_add_u32_e32 v8, v8, v11
	v_mul_hi_u32 v9, v4, v10
	v_mul_lo_u32 v11, v4, v8
	v_mul_hi_u32 v13, v4, v8
	v_mul_hi_u32 v12, v7, v10
	v_mul_lo_u32 v10, v7, v10
	v_mul_hi_u32 v14, v7, v8
	v_add_co_u32_e32 v9, vcc, v9, v11
	v_addc_co_u32_e32 v11, vcc, 0, v13, vcc
	v_mul_lo_u32 v8, v7, v8
	v_add_co_u32_e32 v9, vcc, v9, v10
	v_addc_co_u32_e32 v9, vcc, v11, v12, vcc
	v_addc_co_u32_e32 v10, vcc, 0, v14, vcc
	v_add_co_u32_e32 v8, vcc, v9, v8
	v_addc_co_u32_e32 v9, vcc, 0, v10, vcc
	v_add_co_u32_e32 v4, vcc, v4, v8
	v_addc_co_u32_e32 v7, vcc, v7, v9, vcc
	v_mul_lo_u32 v8, s0, v7
	v_mul_hi_u32 v9, s0, v4
	v_mul_lo_u32 v10, s1, v4
	v_mul_lo_u32 v11, s0, v4
	v_add_u32_e32 v8, v9, v8
	v_add_u32_e32 v8, v8, v10
	v_mul_lo_u32 v12, v4, v8
	v_mul_hi_u32 v13, v4, v11
	v_mul_hi_u32 v14, v4, v8
	;; [unrolled: 1-line block ×3, first 2 shown]
	v_mul_lo_u32 v11, v7, v11
	v_mul_hi_u32 v9, v7, v8
	v_add_co_u32_e32 v12, vcc, v13, v12
	v_addc_co_u32_e32 v13, vcc, 0, v14, vcc
	v_mul_lo_u32 v8, v7, v8
	v_add_co_u32_e32 v11, vcc, v12, v11
	v_addc_co_u32_e32 v10, vcc, v13, v10, vcc
	v_addc_co_u32_e32 v9, vcc, 0, v9, vcc
	v_add_co_u32_e32 v8, vcc, v10, v8
	v_addc_co_u32_e32 v9, vcc, 0, v9, vcc
	v_add_co_u32_e32 v4, vcc, v4, v8
	v_addc_co_u32_e32 v9, vcc, v7, v9, vcc
	v_mad_u64_u32 v[7:8], s[0:1], v5, v9, 0
	v_mul_hi_u32 v10, v5, v4
	v_add_co_u32_e32 v11, vcc, v10, v7
	v_addc_co_u32_e32 v12, vcc, 0, v8, vcc
	v_mad_u64_u32 v[7:8], s[0:1], v6, v4, 0
	v_mad_u64_u32 v[9:10], s[0:1], v6, v9, 0
	v_add_co_u32_e32 v4, vcc, v11, v7
	v_addc_co_u32_e32 v4, vcc, v12, v8, vcc
	v_addc_co_u32_e32 v7, vcc, 0, v10, vcc
	v_add_co_u32_e32 v4, vcc, v4, v9
	v_addc_co_u32_e32 v9, vcc, 0, v7, vcc
	v_mul_lo_u32 v10, s19, v4
	v_mul_lo_u32 v11, s18, v9
	v_mad_u64_u32 v[7:8], s[0:1], s18, v4, 0
	v_add3_u32 v8, v8, v11, v10
	v_sub_u32_e32 v10, v6, v8
	v_mov_b32_e32 v11, s19
	v_sub_co_u32_e32 v7, vcc, v5, v7
	v_subb_co_u32_e64 v10, s[0:1], v10, v11, vcc
	v_subrev_co_u32_e64 v11, s[0:1], s18, v7
	v_subbrev_co_u32_e64 v10, s[0:1], 0, v10, s[0:1]
	v_cmp_le_u32_e64 s[0:1], s19, v10
	v_cndmask_b32_e64 v12, 0, -1, s[0:1]
	v_cmp_le_u32_e64 s[0:1], s18, v11
	v_cndmask_b32_e64 v11, 0, -1, s[0:1]
	v_cmp_eq_u32_e64 s[0:1], s19, v10
	v_cndmask_b32_e64 v10, v12, v11, s[0:1]
	v_add_co_u32_e64 v11, s[0:1], 2, v4
	v_addc_co_u32_e64 v12, s[0:1], 0, v9, s[0:1]
	v_add_co_u32_e64 v13, s[0:1], 1, v4
	v_addc_co_u32_e64 v14, s[0:1], 0, v9, s[0:1]
	v_subb_co_u32_e32 v8, vcc, v6, v8, vcc
	v_cmp_ne_u32_e64 s[0:1], 0, v10
	v_cmp_le_u32_e32 vcc, s19, v8
	v_cndmask_b32_e64 v10, v14, v12, s[0:1]
	v_cndmask_b32_e64 v12, 0, -1, vcc
	v_cmp_le_u32_e32 vcc, s18, v7
	v_cndmask_b32_e64 v7, 0, -1, vcc
	v_cmp_eq_u32_e32 vcc, s19, v8
	v_cndmask_b32_e32 v7, v12, v7, vcc
	v_cmp_ne_u32_e32 vcc, 0, v7
	v_cndmask_b32_e64 v7, v13, v11, s[0:1]
	v_cndmask_b32_e32 v8, v9, v10, vcc
	v_cndmask_b32_e32 v7, v4, v7, vcc
.LBB0_4:                                ;   in Loop: Header=BB0_2 Depth=1
	s_andn2_saveexec_b64 s[0:1], s[20:21]
	s_cbranch_execz .LBB0_6
; %bb.5:                                ;   in Loop: Header=BB0_2 Depth=1
	v_cvt_f32_u32_e32 v4, s18
	s_sub_i32 s20, 0, s18
	v_rcp_iflag_f32_e32 v4, v4
	v_mul_f32_e32 v4, 0x4f7ffffe, v4
	v_cvt_u32_f32_e32 v4, v4
	v_mul_lo_u32 v7, s20, v4
	v_mul_hi_u32 v7, v4, v7
	v_add_u32_e32 v4, v4, v7
	v_mul_hi_u32 v4, v5, v4
	v_mul_lo_u32 v7, v4, s18
	v_add_u32_e32 v8, 1, v4
	v_sub_u32_e32 v7, v5, v7
	v_subrev_u32_e32 v9, s18, v7
	v_cmp_le_u32_e32 vcc, s18, v7
	v_cndmask_b32_e32 v7, v7, v9, vcc
	v_cndmask_b32_e32 v4, v4, v8, vcc
	v_add_u32_e32 v8, 1, v4
	v_cmp_le_u32_e32 vcc, s18, v7
	v_cndmask_b32_e32 v7, v4, v8, vcc
	v_mov_b32_e32 v8, v3
.LBB0_6:                                ;   in Loop: Header=BB0_2 Depth=1
	s_or_b64 exec, exec, s[0:1]
	v_mul_lo_u32 v4, v8, s18
	v_mul_lo_u32 v11, v7, s19
	v_mad_u64_u32 v[9:10], s[0:1], v7, s18, 0
	s_load_dwordx2 s[0:1], s[6:7], 0x0
	s_add_u32 s16, s16, 1
	v_add3_u32 v4, v10, v11, v4
	v_sub_co_u32_e32 v5, vcc, v5, v9
	v_subb_co_u32_e32 v4, vcc, v6, v4, vcc
	s_waitcnt lgkmcnt(0)
	v_mul_lo_u32 v4, s0, v4
	v_mul_lo_u32 v6, s1, v5
	v_mad_u64_u32 v[1:2], s[0:1], s0, v5, v[1:2]
	s_addc_u32 s17, s17, 0
	s_add_u32 s6, s6, 8
	v_add3_u32 v2, v6, v2, v4
	v_mov_b32_e32 v4, s10
	v_mov_b32_e32 v5, s11
	s_addc_u32 s7, s7, 0
	v_cmp_ge_u64_e32 vcc, s[16:17], v[4:5]
	s_add_u32 s14, s14, 8
	s_addc_u32 s15, s15, 0
	s_cbranch_vccnz .LBB0_9
; %bb.7:                                ;   in Loop: Header=BB0_2 Depth=1
	v_mov_b32_e32 v5, v7
	v_mov_b32_e32 v6, v8
	s_branch .LBB0_2
.LBB0_8:
	v_mov_b32_e32 v8, v6
	v_mov_b32_e32 v7, v5
.LBB0_9:
	s_lshl_b64 s[0:1], s[10:11], 3
	s_add_u32 s0, s12, s0
	s_addc_u32 s1, s13, s1
	s_load_dwordx2 s[6:7], s[0:1], 0x0
	s_load_dwordx2 s[10:11], s[4:5], 0x20
	s_waitcnt lgkmcnt(0)
	v_mad_u64_u32 v[1:2], s[0:1], s6, v7, v[1:2]
	v_mul_lo_u32 v3, s6, v8
	v_mul_lo_u32 v4, s7, v7
	s_mov_b32 s0, 0x4924925
	v_mul_hi_u32 v5, v0, s0
	v_cmp_gt_u64_e64 s[0:1], s[10:11], v[7:8]
	v_add3_u32 v2, v4, v2, v3
	v_lshlrev_b64 v[58:59], 4, v[1:2]
	v_mul_u32_u24_e32 v3, 56, v5
	v_sub_u32_e32 v56, v0, v3
	s_and_saveexec_b64 s[4:5], s[0:1]
	s_cbranch_execz .LBB0_13
; %bb.10:
	v_mov_b32_e32 v57, 0
	v_mov_b32_e32 v0, s3
	v_add_co_u32_e32 v1, vcc, s2, v58
	v_lshlrev_b64 v[2:3], 4, v[56:57]
	v_addc_co_u32_e32 v0, vcc, v0, v59, vcc
	v_add_co_u32_e32 v41, vcc, v1, v2
	v_addc_co_u32_e32 v42, vcc, v0, v3, vcc
	s_movk_i32 s6, 0x1000
	v_or_b32_e32 v34, 0x1c0, v56
	v_mov_b32_e32 v35, v57
	v_add_co_u32_e32 v43, vcc, s6, v41
	v_lshlrev_b64 v[34:35], 4, v[34:35]
	v_addc_co_u32_e32 v44, vcc, 0, v42, vcc
	v_add_co_u32_e32 v45, vcc, v1, v34
	v_addc_co_u32_e32 v46, vcc, v0, v35, vcc
	v_add_co_u32_e32 v50, vcc, 0x2000, v41
	v_addc_co_u32_e32 v51, vcc, 0, v42, vcc
	global_load_dwordx4 v[2:5], v[41:42], off
	global_load_dwordx4 v[6:9], v[41:42], off offset:896
	global_load_dwordx4 v[10:13], v[41:42], off offset:1792
	;; [unrolled: 1-line block ×7, first 2 shown]
	global_load_dwordx4 v[34:37], v[45:46], off
	s_nop 0
	global_load_dwordx4 v[38:41], v[43:44], off offset:3968
	s_nop 0
	global_load_dwordx4 v[42:45], v[50:51], off offset:768
	global_load_dwordx4 v[46:49], v[50:51], off offset:1664
	v_lshl_add_u32 v50, v56, 4, 0
	v_cmp_eq_u32_e32 vcc, 55, v56
	s_waitcnt vmcnt(11)
	ds_write_b128 v50, v[2:5]
	s_waitcnt vmcnt(10)
	ds_write_b128 v50, v[6:9] offset:896
	s_waitcnt vmcnt(9)
	ds_write_b128 v50, v[10:13] offset:1792
	;; [unrolled: 2-line block ×11, first 2 shown]
	s_and_saveexec_b64 s[6:7], vcc
	s_cbranch_execz .LBB0_12
; %bb.11:
	v_add_co_u32_e32 v1, vcc, 0x2000, v1
	v_addc_co_u32_e32 v2, vcc, 0, v0, vcc
	global_load_dwordx4 v[0:3], v[1:2], off offset:2560
	v_mov_b32_e32 v56, 55
	s_waitcnt vmcnt(0)
	ds_write_b128 v57, v[0:3] offset:10752
.LBB0_12:
	s_or_b64 exec, exec, s[6:7]
.LBB0_13:
	s_or_b64 exec, exec, s[4:5]
	v_lshlrev_b32_e32 v0, 4, v56
	v_add_u32_e32 v60, 0, v0
	s_waitcnt lgkmcnt(0)
	; wave barrier
	s_waitcnt lgkmcnt(0)
	v_sub_u32_e32 v10, 0, v0
	ds_read_b64 v[6:7], v60
	ds_read_b64 v[8:9], v10 offset:10752
	s_add_u32 s6, s8, 0x29e0
	s_addc_u32 s7, s9, 0
	v_cmp_ne_u32_e32 vcc, 0, v56
                                        ; implicit-def: $vgpr4_vgpr5
	s_waitcnt lgkmcnt(0)
	v_add_f64 v[0:1], v[6:7], v[8:9]
	v_add_f64 v[2:3], v[6:7], -v[8:9]
	s_and_saveexec_b64 s[4:5], vcc
	s_xor_b64 s[4:5], exec, s[4:5]
	s_cbranch_execz .LBB0_15
; %bb.14:
	v_mov_b32_e32 v57, 0
	v_lshlrev_b64 v[0:1], 4, v[56:57]
	v_mov_b32_e32 v2, s7
	v_add_co_u32_e32 v0, vcc, s6, v0
	v_addc_co_u32_e32 v1, vcc, v2, v1, vcc
	global_load_dwordx4 v[2:5], v[0:1], off
	ds_read_b64 v[0:1], v10 offset:10760
	ds_read_b64 v[11:12], v60 offset:8
	v_add_f64 v[13:14], v[6:7], v[8:9]
	v_add_f64 v[8:9], v[6:7], -v[8:9]
	s_waitcnt lgkmcnt(0)
	v_add_f64 v[15:16], v[0:1], v[11:12]
	v_add_f64 v[0:1], v[11:12], -v[0:1]
	s_waitcnt vmcnt(0)
	v_fma_f64 v[6:7], -v[8:9], v[4:5], v[13:14]
	v_fma_f64 v[11:12], v[15:16], v[4:5], -v[0:1]
	v_fma_f64 v[13:14], v[8:9], v[4:5], v[13:14]
	v_fma_f64 v[17:18], v[15:16], v[4:5], v[0:1]
	;; [unrolled: 1-line block ×4, first 2 shown]
	v_fma_f64 v[0:1], -v[15:16], v[2:3], v[13:14]
	v_fma_f64 v[2:3], v[8:9], v[2:3], v[17:18]
	ds_write_b128 v10, v[4:7] offset:10752
	v_mov_b32_e32 v4, v56
	v_mov_b32_e32 v5, v57
.LBB0_15:
	s_andn2_saveexec_b64 s[4:5], s[4:5]
	s_cbranch_execz .LBB0_17
; %bb.16:
	v_mov_b32_e32 v8, 0
	ds_read_b128 v[4:7], v8 offset:5376
	s_waitcnt lgkmcnt(0)
	v_add_f64 v[11:12], v[4:5], v[4:5]
	v_mul_f64 v[13:14], v[6:7], -2.0
	v_mov_b32_e32 v4, 0
	v_mov_b32_e32 v5, 0
	ds_write_b128 v8, v[11:14] offset:5376
.LBB0_17:
	s_or_b64 exec, exec, s[4:5]
	v_lshlrev_b64 v[4:5], 4, v[4:5]
	v_mov_b32_e32 v6, s7
	v_add_co_u32_e32 v23, vcc, s6, v4
	v_addc_co_u32_e32 v24, vcc, v6, v5, vcc
	global_load_dwordx4 v[4:7], v[23:24], off offset:896
	global_load_dwordx4 v[11:14], v[23:24], off offset:1792
	ds_write_b128 v60, v[0:3]
	ds_read_b128 v[0:3], v60 offset:896
	ds_read_b128 v[15:18], v10 offset:9856
	global_load_dwordx4 v[19:22], v[23:24], off offset:2688
	s_movk_i32 s4, 0x1000
	v_lshl_add_u32 v55, v56, 4, v60
	v_add_u32_e32 v57, 56, v56
	s_waitcnt lgkmcnt(0)
	v_add_f64 v[8:9], v[0:1], v[15:16]
	v_add_f64 v[25:26], v[17:18], v[2:3]
	v_add_f64 v[15:16], v[0:1], -v[15:16]
	v_add_f64 v[0:1], v[2:3], -v[17:18]
	v_and_b32_e32 v61, 1, v56
	v_lshlrev_b32_e32 v64, 4, v61
	s_movk_i32 s6, 0xfc
	s_movk_i32 s5, 0x1fc
	s_movk_i32 s7, 0x3fc
	s_movk_i32 s10, 0x2fc
	s_waitcnt vmcnt(2)
	v_fma_f64 v[2:3], v[15:16], v[6:7], v[8:9]
	v_fma_f64 v[17:18], v[25:26], v[6:7], v[0:1]
	v_fma_f64 v[8:9], -v[15:16], v[6:7], v[8:9]
	v_fma_f64 v[27:28], v[25:26], v[6:7], -v[0:1]
	v_fma_f64 v[0:1], -v[25:26], v[4:5], v[2:3]
	v_fma_f64 v[2:3], v[15:16], v[4:5], v[17:18]
	v_fma_f64 v[6:7], v[25:26], v[4:5], v[8:9]
	;; [unrolled: 1-line block ×3, first 2 shown]
	ds_write_b128 v60, v[0:3] offset:896
	ds_write_b128 v10, v[6:9] offset:9856
	ds_read_b128 v[0:3], v60 offset:1792
	ds_read_b128 v[4:7], v10 offset:8960
	global_load_dwordx4 v[15:18], v[23:24], off offset:3584
	s_waitcnt lgkmcnt(0)
	v_add_f64 v[8:9], v[0:1], v[4:5]
	v_add_f64 v[25:26], v[6:7], v[2:3]
	v_add_f64 v[27:28], v[0:1], -v[4:5]
	v_add_f64 v[0:1], v[2:3], -v[6:7]
	s_waitcnt vmcnt(2)
	v_fma_f64 v[2:3], v[27:28], v[13:14], v[8:9]
	v_fma_f64 v[4:5], v[25:26], v[13:14], v[0:1]
	v_fma_f64 v[6:7], -v[27:28], v[13:14], v[8:9]
	v_fma_f64 v[8:9], v[25:26], v[13:14], -v[0:1]
	v_fma_f64 v[0:1], -v[25:26], v[11:12], v[2:3]
	v_fma_f64 v[2:3], v[27:28], v[11:12], v[4:5]
	v_fma_f64 v[4:5], v[25:26], v[11:12], v[6:7]
	;; [unrolled: 1-line block ×3, first 2 shown]
	ds_write_b128 v60, v[0:3] offset:1792
	ds_write_b128 v10, v[4:7] offset:8960
	v_add_co_u32_e32 v0, vcc, s4, v23
	v_addc_co_u32_e32 v1, vcc, 0, v24, vcc
	ds_read_b128 v[4:7], v60 offset:2688
	ds_read_b128 v[11:14], v10 offset:8064
	global_load_dwordx4 v[0:3], v[0:1], off offset:384
	s_movk_i32 s4, 0x7c
	v_cmp_gt_u32_e32 vcc, 40, v56
	s_waitcnt lgkmcnt(0)
	v_add_f64 v[8:9], v[4:5], v[11:12]
	v_add_f64 v[23:24], v[13:14], v[6:7]
	v_add_f64 v[25:26], v[4:5], -v[11:12]
	v_add_f64 v[4:5], v[6:7], -v[13:14]
	s_waitcnt vmcnt(2)
	v_fma_f64 v[6:7], v[25:26], v[21:22], v[8:9]
	v_fma_f64 v[11:12], v[23:24], v[21:22], v[4:5]
	v_fma_f64 v[8:9], -v[25:26], v[21:22], v[8:9]
	v_fma_f64 v[13:14], v[23:24], v[21:22], -v[4:5]
	v_fma_f64 v[4:5], -v[23:24], v[19:20], v[6:7]
	v_fma_f64 v[6:7], v[25:26], v[19:20], v[11:12]
	v_fma_f64 v[11:12], v[23:24], v[19:20], v[8:9]
	;; [unrolled: 1-line block ×3, first 2 shown]
	ds_write_b128 v60, v[4:7] offset:2688
	ds_write_b128 v10, v[11:14] offset:8064
	ds_read_b128 v[4:7], v60 offset:3584
	ds_read_b128 v[11:14], v10 offset:7168
	s_waitcnt lgkmcnt(0)
	v_add_f64 v[8:9], v[4:5], v[11:12]
	v_add_f64 v[19:20], v[13:14], v[6:7]
	v_add_f64 v[21:22], v[4:5], -v[11:12]
	v_add_f64 v[4:5], v[6:7], -v[13:14]
	s_waitcnt vmcnt(1)
	v_fma_f64 v[6:7], v[21:22], v[17:18], v[8:9]
	v_fma_f64 v[11:12], v[19:20], v[17:18], v[4:5]
	v_fma_f64 v[8:9], -v[21:22], v[17:18], v[8:9]
	v_fma_f64 v[13:14], v[19:20], v[17:18], -v[4:5]
	v_fma_f64 v[4:5], -v[19:20], v[15:16], v[6:7]
	v_fma_f64 v[6:7], v[21:22], v[15:16], v[11:12]
	v_fma_f64 v[11:12], v[19:20], v[15:16], v[8:9]
	;; [unrolled: 1-line block ×3, first 2 shown]
	ds_write_b128 v60, v[4:7] offset:3584
	ds_write_b128 v10, v[11:14] offset:7168
	ds_read_b128 v[4:7], v60 offset:4480
	ds_read_b128 v[11:14], v10 offset:6272
	s_waitcnt lgkmcnt(0)
	v_add_f64 v[8:9], v[4:5], v[11:12]
	v_add_f64 v[15:16], v[13:14], v[6:7]
	v_add_f64 v[17:18], v[4:5], -v[11:12]
	v_add_f64 v[5:6], v[6:7], -v[13:14]
	v_add_u32_e32 v4, 0x70, v56
	s_waitcnt vmcnt(0)
	v_fma_f64 v[11:12], v[17:18], v[2:3], v[8:9]
	v_fma_f64 v[13:14], v[15:16], v[2:3], v[5:6]
	v_fma_f64 v[7:8], -v[17:18], v[2:3], v[8:9]
	v_fma_f64 v[19:20], v[15:16], v[2:3], -v[5:6]
	v_add_u32_e32 v2, 0xa8, v56
	v_add_u32_e32 v6, 0xe0, v56
	v_add_u32_e32 v3, 0x118, v56
	v_lshl_add_u32 v5, v2, 5, 0
	v_fma_f64 v[11:12], -v[15:16], v[0:1], v[11:12]
	v_fma_f64 v[13:14], v[17:18], v[0:1], v[13:14]
	v_fma_f64 v[15:16], v[15:16], v[0:1], v[7:8]
	v_fma_f64 v[17:18], v[17:18], v[0:1], v[19:20]
	ds_write_b128 v60, v[11:14] offset:4480
	ds_write_b128 v10, v[15:18] offset:6272
	s_waitcnt lgkmcnt(0)
	; wave barrier
	s_waitcnt lgkmcnt(0)
	s_waitcnt lgkmcnt(0)
	; wave barrier
	s_waitcnt lgkmcnt(0)
	ds_read_b128 v[7:10], v60
	ds_read_b128 v[11:14], v60 offset:896
	ds_read_b128 v[15:18], v60 offset:5376
	;; [unrolled: 1-line block ×11, first 2 shown]
	s_waitcnt lgkmcnt(9)
	v_add_f64 v[15:16], v[7:8], -v[15:16]
	v_add_f64 v[17:18], v[9:10], -v[17:18]
	s_waitcnt lgkmcnt(8)
	v_add_f64 v[19:20], v[11:12], -v[19:20]
	v_add_f64 v[21:22], v[13:14], -v[21:22]
	;; [unrolled: 3-line block ×6, first 2 shown]
	v_fma_f64 v[7:8], v[7:8], 2.0, -v[15:16]
	v_fma_f64 v[9:10], v[9:10], 2.0, -v[17:18]
	;; [unrolled: 1-line block ×4, first 2 shown]
	v_lshl_add_u32 v0, v57, 5, 0
	s_waitcnt lgkmcnt(0)
	; wave barrier
	ds_write_b128 v55, v[15:18] offset:16
	v_fma_f64 v[15:16], v[23:24], 2.0, -v[31:32]
	v_fma_f64 v[17:18], v[25:26], 2.0, -v[33:34]
	ds_write_b128 v0, v[19:22] offset:16
	v_fma_f64 v[19:20], v[27:28], 2.0, -v[35:36]
	v_fma_f64 v[21:22], v[29:30], 2.0, -v[37:38]
	v_fma_f64 v[23:24], v[39:40], 2.0, -v[47:48]
	v_fma_f64 v[25:26], v[41:42], 2.0, -v[49:50]
	v_lshl_add_u32 v1, v4, 5, 0
	v_lshl_add_u32 v62, v6, 5, 0
	v_fma_f64 v[27:28], v[43:44], 2.0, -v[51:52]
	v_fma_f64 v[29:30], v[45:46], 2.0, -v[53:54]
	v_lshl_add_u32 v63, v3, 5, 0
	ds_write_b128 v1, v[31:34] offset:16
	ds_write_b128 v5, v[35:38] offset:16
	;; [unrolled: 1-line block ×4, first 2 shown]
	ds_write_b128 v55, v[7:10]
	ds_write_b128 v0, v[11:14]
	;; [unrolled: 1-line block ×6, first 2 shown]
	s_waitcnt lgkmcnt(0)
	; wave barrier
	s_waitcnt lgkmcnt(0)
	global_load_dwordx4 v[9:12], v64, s[8:9]
	v_lshlrev_b32_e32 v0, 1, v56
	v_and_or_b32 v13, v0, s4, v61
	v_lshlrev_b32_e32 v1, 1, v57
	v_lshlrev_b32_e32 v5, 1, v4
	;; [unrolled: 1-line block ×5, first 2 shown]
	v_lshl_add_u32 v82, v13, 4, 0
	v_and_or_b32 v13, v1, s6, v61
	v_and_or_b32 v14, v5, s5, v61
	;; [unrolled: 1-line block ×5, first 2 shown]
	v_lshl_add_u32 v83, v13, 4, 0
	v_lshl_add_u32 v84, v14, 4, 0
	v_lshl_add_u32 v85, v15, 4, 0
	v_lshl_add_u32 v86, v16, 4, 0
	v_lshl_add_u32 v87, v17, 4, 0
	ds_read_b128 v[13:16], v60 offset:5376
	ds_read_b128 v[17:20], v60 offset:6272
	;; [unrolled: 1-line block ×6, first 2 shown]
	ds_read_b128 v[37:40], v60
	ds_read_b128 v[41:44], v60 offset:896
	ds_read_b128 v[45:48], v60 offset:1792
	;; [unrolled: 1-line block ×3, first 2 shown]
	v_and_b32_e32 v55, 3, v56
	v_lshlrev_b32_e32 v81, 4, v55
	s_movk_i32 s4, 0x78
	s_movk_i32 s6, 0xf8
	;; [unrolled: 1-line block ×5, first 2 shown]
	v_and_b32_e32 v3, 15, v3
	s_waitcnt vmcnt(0) lgkmcnt(9)
	v_mul_f64 v[53:54], v[15:16], v[11:12]
	v_mul_f64 v[61:62], v[13:14], v[11:12]
	s_waitcnt lgkmcnt(8)
	v_mul_f64 v[63:64], v[19:20], v[11:12]
	v_mul_f64 v[65:66], v[17:18], v[11:12]
	s_waitcnt lgkmcnt(7)
	;; [unrolled: 3-line block ×3, first 2 shown]
	v_mul_f64 v[71:72], v[27:28], v[11:12]
	v_fma_f64 v[53:54], v[13:14], v[9:10], v[53:54]
	v_mul_f64 v[13:14], v[25:26], v[11:12]
	v_fma_f64 v[61:62], v[15:16], v[9:10], -v[61:62]
	s_waitcnt lgkmcnt(5)
	v_mul_f64 v[15:16], v[31:32], v[11:12]
	v_fma_f64 v[63:64], v[17:18], v[9:10], v[63:64]
	v_fma_f64 v[65:66], v[19:20], v[9:10], -v[65:66]
	v_mul_f64 v[17:18], v[29:30], v[11:12]
	s_waitcnt lgkmcnt(4)
	v_mul_f64 v[19:20], v[35:36], v[11:12]
	v_fma_f64 v[67:68], v[21:22], v[9:10], v[67:68]
	v_mul_f64 v[21:22], v[33:34], v[11:12]
	v_fma_f64 v[69:70], v[23:24], v[9:10], -v[69:70]
	v_fma_f64 v[71:72], v[25:26], v[9:10], v[71:72]
	v_fma_f64 v[73:74], v[27:28], v[9:10], -v[13:14]
	v_fma_f64 v[75:76], v[29:30], v[9:10], v[15:16]
	;; [unrolled: 2-line block ×3, first 2 shown]
	s_waitcnt lgkmcnt(3)
	v_add_f64 v[19:20], v[37:38], -v[53:54]
	v_fma_f64 v[9:10], v[35:36], v[9:10], -v[21:22]
	v_add_f64 v[21:22], v[39:40], -v[61:62]
	s_waitcnt lgkmcnt(2)
	v_add_f64 v[23:24], v[41:42], -v[63:64]
	v_add_f64 v[25:26], v[43:44], -v[65:66]
	ds_read_b128 v[11:14], v60 offset:3584
	ds_read_b128 v[15:18], v60 offset:4480
	s_waitcnt lgkmcnt(3)
	v_add_f64 v[27:28], v[45:46], -v[67:68]
	v_add_f64 v[29:30], v[47:48], -v[69:70]
	s_waitcnt lgkmcnt(2)
	v_add_f64 v[31:32], v[49:50], -v[71:72]
	v_add_f64 v[33:34], v[51:52], -v[73:74]
	;; [unrolled: 3-line block ×4, first 2 shown]
	v_fma_f64 v[35:36], v[37:38], 2.0, -v[19:20]
	v_fma_f64 v[37:38], v[39:40], 2.0, -v[21:22]
	s_waitcnt lgkmcnt(0)
	; wave barrier
	ds_write_b128 v82, v[19:22] offset:32
	v_fma_f64 v[19:20], v[41:42], 2.0, -v[23:24]
	v_fma_f64 v[21:22], v[43:44], 2.0, -v[25:26]
	;; [unrolled: 1-line block ×10, first 2 shown]
	ds_write_b128 v82, v[35:38]
	ds_write_b128 v83, v[19:22]
	ds_write_b128 v83, v[23:26] offset:32
	ds_write_b128 v84, v[39:42]
	ds_write_b128 v84, v[27:30] offset:32
	;; [unrolled: 2-line block ×5, first 2 shown]
	s_waitcnt lgkmcnt(0)
	; wave barrier
	s_waitcnt lgkmcnt(0)
	global_load_dwordx4 v[10:13], v81, s[8:9] offset:32
	v_and_or_b32 v14, v0, s4, v55
	v_lshl_add_u32 v82, v14, 4, 0
	v_and_or_b32 v14, v1, s6, v55
	v_and_or_b32 v15, v5, s5, v55
	;; [unrolled: 1-line block ×5, first 2 shown]
	v_lshl_add_u32 v83, v14, 4, 0
	v_lshl_add_u32 v84, v15, 4, 0
	v_lshl_add_u32 v85, v16, 4, 0
	v_lshl_add_u32 v86, v17, 4, 0
	v_lshl_add_u32 v87, v18, 4, 0
	ds_read_b128 v[14:17], v60 offset:5376
	ds_read_b128 v[18:21], v60 offset:6272
	;; [unrolled: 1-line block ×6, first 2 shown]
	ds_read_b128 v[38:41], v60
	ds_read_b128 v[42:45], v60 offset:896
	ds_read_b128 v[46:49], v60 offset:1792
	;; [unrolled: 1-line block ×3, first 2 shown]
	v_and_b32_e32 v9, 7, v56
	v_lshlrev_b32_e32 v81, 4, v9
	s_movk_i32 s7, 0x70
	s_movk_i32 s4, 0xf0
	;; [unrolled: 1-line block ×5, first 2 shown]
	s_waitcnt vmcnt(0) lgkmcnt(9)
	v_mul_f64 v[54:55], v[16:17], v[12:13]
	v_mul_f64 v[61:62], v[14:15], v[12:13]
	s_waitcnt lgkmcnt(8)
	v_mul_f64 v[63:64], v[20:21], v[12:13]
	v_mul_f64 v[65:66], v[18:19], v[12:13]
	s_waitcnt lgkmcnt(7)
	;; [unrolled: 3-line block ×3, first 2 shown]
	v_mul_f64 v[71:72], v[28:29], v[12:13]
	v_fma_f64 v[54:55], v[14:15], v[10:11], v[54:55]
	v_mul_f64 v[14:15], v[26:27], v[12:13]
	v_fma_f64 v[61:62], v[16:17], v[10:11], -v[61:62]
	s_waitcnt lgkmcnt(5)
	v_mul_f64 v[16:17], v[32:33], v[12:13]
	v_fma_f64 v[63:64], v[18:19], v[10:11], v[63:64]
	v_mul_f64 v[18:19], v[30:31], v[12:13]
	v_fma_f64 v[65:66], v[20:21], v[10:11], -v[65:66]
	s_waitcnt lgkmcnt(4)
	v_mul_f64 v[20:21], v[36:37], v[12:13]
	v_fma_f64 v[67:68], v[22:23], v[10:11], v[67:68]
	v_mul_f64 v[22:23], v[34:35], v[12:13]
	v_fma_f64 v[69:70], v[24:25], v[10:11], -v[69:70]
	v_fma_f64 v[71:72], v[26:27], v[10:11], v[71:72]
	v_fma_f64 v[73:74], v[28:29], v[10:11], -v[14:15]
	v_fma_f64 v[75:76], v[30:31], v[10:11], v[16:17]
	;; [unrolled: 2-line block ×3, first 2 shown]
	s_waitcnt lgkmcnt(3)
	v_add_f64 v[20:21], v[38:39], -v[54:55]
	v_fma_f64 v[10:11], v[36:37], v[10:11], -v[22:23]
	v_add_f64 v[22:23], v[40:41], -v[61:62]
	s_waitcnt lgkmcnt(2)
	v_add_f64 v[24:25], v[42:43], -v[63:64]
	v_add_f64 v[26:27], v[44:45], -v[65:66]
	ds_read_b128 v[12:15], v60 offset:3584
	ds_read_b128 v[16:19], v60 offset:4480
	s_waitcnt lgkmcnt(3)
	v_add_f64 v[28:29], v[46:47], -v[67:68]
	v_add_f64 v[30:31], v[48:49], -v[69:70]
	s_waitcnt lgkmcnt(2)
	v_add_f64 v[32:33], v[50:51], -v[71:72]
	v_add_f64 v[34:35], v[52:53], -v[73:74]
	;; [unrolled: 3-line block ×4, first 2 shown]
	v_fma_f64 v[36:37], v[38:39], 2.0, -v[20:21]
	v_fma_f64 v[38:39], v[40:41], 2.0, -v[22:23]
	s_waitcnt lgkmcnt(0)
	; wave barrier
	ds_write_b128 v82, v[20:23] offset:64
	v_fma_f64 v[20:21], v[42:43], 2.0, -v[24:25]
	v_fma_f64 v[22:23], v[44:45], 2.0, -v[26:27]
	;; [unrolled: 1-line block ×10, first 2 shown]
	ds_write_b128 v82, v[36:39]
	ds_write_b128 v83, v[20:23]
	ds_write_b128 v83, v[24:27] offset:64
	ds_write_b128 v84, v[40:43]
	ds_write_b128 v84, v[28:31] offset:64
	;; [unrolled: 2-line block ×5, first 2 shown]
	s_waitcnt lgkmcnt(0)
	; wave barrier
	s_waitcnt lgkmcnt(0)
	global_load_dwordx4 v[10:13], v81, s[8:9] offset:96
	v_and_or_b32 v14, v0, s7, v9
	v_lshl_add_u32 v82, v14, 4, 0
	v_and_or_b32 v14, v1, s4, v9
	v_and_or_b32 v15, v5, s5, v9
	;; [unrolled: 1-line block ×4, first 2 shown]
	v_lshl_add_u32 v84, v14, 4, 0
	v_lshl_add_u32 v85, v15, 4, 0
	;; [unrolled: 1-line block ×4, first 2 shown]
	ds_read_b128 v[14:17], v60 offset:5376
	ds_read_b128 v[18:21], v60 offset:6272
	;; [unrolled: 1-line block ×6, first 2 shown]
	ds_read_b128 v[38:41], v60
	ds_read_b128 v[42:45], v60 offset:896
	v_and_or_b32 v9, v7, s10, v9
	ds_read_b128 v[46:49], v60 offset:1792
	ds_read_b128 v[50:53], v60 offset:2688
	v_lshl_add_u32 v88, v9, 4, 0
	v_and_b32_e32 v81, 15, v2
	v_lshlrev_b32_e32 v83, 4, v81
	s_movk_i32 s4, 0x60
	s_movk_i32 s5, 0xe0
	s_movk_i32 s6, 0x1e0
	s_movk_i32 s7, 0x3e0
	s_movk_i32 s10, 0x2e0
	s_waitcnt vmcnt(0) lgkmcnt(9)
	v_mul_f64 v[54:55], v[16:17], v[12:13]
	v_mul_f64 v[61:62], v[14:15], v[12:13]
	s_waitcnt lgkmcnt(8)
	v_mul_f64 v[63:64], v[20:21], v[12:13]
	v_mul_f64 v[65:66], v[18:19], v[12:13]
	s_waitcnt lgkmcnt(7)
	;; [unrolled: 3-line block ×3, first 2 shown]
	v_mul_f64 v[71:72], v[28:29], v[12:13]
	v_fma_f64 v[54:55], v[14:15], v[10:11], v[54:55]
	v_mul_f64 v[14:15], v[26:27], v[12:13]
	v_fma_f64 v[61:62], v[16:17], v[10:11], -v[61:62]
	s_waitcnt lgkmcnt(5)
	v_mul_f64 v[16:17], v[32:33], v[12:13]
	v_fma_f64 v[63:64], v[18:19], v[10:11], v[63:64]
	v_mul_f64 v[18:19], v[30:31], v[12:13]
	v_fma_f64 v[65:66], v[20:21], v[10:11], -v[65:66]
	s_waitcnt lgkmcnt(4)
	v_mul_f64 v[20:21], v[36:37], v[12:13]
	v_fma_f64 v[67:68], v[22:23], v[10:11], v[67:68]
	v_mul_f64 v[22:23], v[34:35], v[12:13]
	v_fma_f64 v[69:70], v[24:25], v[10:11], -v[69:70]
	v_fma_f64 v[71:72], v[26:27], v[10:11], v[71:72]
	v_fma_f64 v[73:74], v[28:29], v[10:11], -v[14:15]
	v_fma_f64 v[75:76], v[30:31], v[10:11], v[16:17]
	;; [unrolled: 2-line block ×3, first 2 shown]
	s_waitcnt lgkmcnt(3)
	v_add_f64 v[20:21], v[38:39], -v[54:55]
	v_fma_f64 v[9:10], v[36:37], v[10:11], -v[22:23]
	v_add_f64 v[22:23], v[40:41], -v[61:62]
	s_waitcnt lgkmcnt(2)
	v_add_f64 v[24:25], v[42:43], -v[63:64]
	v_add_f64 v[26:27], v[44:45], -v[65:66]
	ds_read_b128 v[12:15], v60 offset:3584
	ds_read_b128 v[16:19], v60 offset:4480
	s_waitcnt lgkmcnt(3)
	v_add_f64 v[28:29], v[46:47], -v[67:68]
	v_add_f64 v[30:31], v[48:49], -v[69:70]
	s_waitcnt lgkmcnt(2)
	v_add_f64 v[32:33], v[50:51], -v[71:72]
	v_add_f64 v[34:35], v[52:53], -v[73:74]
	;; [unrolled: 3-line block ×4, first 2 shown]
	v_fma_f64 v[36:37], v[38:39], 2.0, -v[20:21]
	v_fma_f64 v[38:39], v[40:41], 2.0, -v[22:23]
	s_waitcnt lgkmcnt(0)
	; wave barrier
	ds_write_b128 v82, v[20:23] offset:128
	v_fma_f64 v[20:21], v[42:43], 2.0, -v[24:25]
	v_fma_f64 v[22:23], v[44:45], 2.0, -v[26:27]
	;; [unrolled: 1-line block ×10, first 2 shown]
	ds_write_b128 v82, v[36:39]
	ds_write_b128 v84, v[20:23]
	ds_write_b128 v84, v[24:27] offset:128
	ds_write_b128 v85, v[40:43]
	ds_write_b128 v85, v[28:31] offset:128
	;; [unrolled: 2-line block ×5, first 2 shown]
	s_waitcnt lgkmcnt(0)
	; wave barrier
	s_waitcnt lgkmcnt(0)
	global_load_dwordx4 v[9:12], v83, s[8:9] offset:224
	v_and_b32_e32 v21, 15, v56
	v_lshlrev_b32_e32 v13, 4, v21
	global_load_dwordx4 v[13:16], v13, s[8:9] offset:224
	v_lshlrev_b32_e32 v22, 4, v3
	global_load_dwordx4 v[17:20], v22, s[8:9] offset:224
	global_load_dwordx2 v[53:54], v22, s[8:9] offset:232
	v_and_b32_e32 v22, 15, v57
	v_lshlrev_b32_e32 v23, 4, v22
	global_load_dwordx2 v[65:66], v23, s[8:9] offset:224
	v_and_or_b32 v0, v0, s4, v21
	v_lshl_add_u32 v78, v0, 4, 0
	v_and_or_b32 v0, v1, s5, v22
	v_and_or_b32 v1, v8, s6, v81
	;; [unrolled: 1-line block ×5, first 2 shown]
	v_lshl_add_u32 v79, v0, 4, 0
	v_lshl_add_u32 v80, v5, 4, 0
	;; [unrolled: 1-line block ×4, first 2 shown]
	ds_read_b128 v[5:8], v60 offset:8064
	ds_read_b128 v[21:24], v60 offset:7168
	;; [unrolled: 1-line block ×6, first 2 shown]
	ds_read_b128 v[41:44], v60
	ds_read_b128 v[45:48], v60 offset:896
	ds_read_b128 v[49:52], v60 offset:1792
	;; [unrolled: 1-line block ×3, first 2 shown]
	v_and_b32_e32 v55, 31, v56
	v_lshlrev_b32_e32 v77, 5, v55
	v_lshl_add_u32 v3, v3, 4, 0
	s_mov_b32 s4, 0xe8584caa
	s_mov_b32 s5, 0xbfebb67a
	;; [unrolled: 1-line block ×4, first 2 shown]
	s_waitcnt vmcnt(4) lgkmcnt(9)
	v_mul_f64 v[0:1], v[7:8], v[11:12]
	v_mul_f64 v[11:12], v[5:6], v[11:12]
	s_waitcnt vmcnt(3) lgkmcnt(5)
	v_mul_f64 v[67:68], v[35:36], v[15:16]
	v_mul_f64 v[69:70], v[33:34], v[15:16]
	;; [unrolled: 1-line block ×4, first 2 shown]
	v_fma_f64 v[0:1], v[5:6], v[9:10], v[0:1]
	v_fma_f64 v[73:74], v[7:8], v[9:10], -v[11:12]
	s_waitcnt vmcnt(2) lgkmcnt(4)
	v_mul_f64 v[7:8], v[39:40], v[19:20]
	v_mul_f64 v[9:10], v[37:38], v[19:20]
	;; [unrolled: 1-line block ×3, first 2 shown]
	v_fma_f64 v[19:20], v[33:34], v[13:14], v[67:68]
	v_fma_f64 v[33:34], v[35:36], v[13:14], -v[69:70]
	v_mul_f64 v[15:16], v[25:26], v[15:16]
	s_waitcnt vmcnt(1)
	v_mul_f64 v[35:36], v[31:32], v[53:54]
	v_mul_f64 v[53:54], v[29:30], v[53:54]
	s_waitcnt vmcnt(0)
	v_fma_f64 v[37:38], v[37:38], v[65:66], v[7:8]
	v_fma_f64 v[39:40], v[39:40], v[65:66], -v[9:10]
	v_fma_f64 v[21:22], v[21:22], v[13:14], v[71:72]
	v_fma_f64 v[23:24], v[23:24], v[13:14], -v[5:6]
	;; [unrolled: 2-line block ×4, first 2 shown]
	s_waitcnt lgkmcnt(3)
	v_add_f64 v[13:14], v[41:42], -v[19:20]
	v_add_f64 v[15:16], v[43:44], -v[33:34]
	s_waitcnt lgkmcnt(2)
	v_add_f64 v[17:18], v[45:46], -v[37:38]
	v_add_f64 v[19:20], v[47:48], -v[39:40]
	ds_read_b128 v[5:8], v60 offset:3584
	ds_read_b128 v[9:12], v60 offset:4480
	s_waitcnt lgkmcnt(3)
	v_add_f64 v[21:22], v[49:50], -v[21:22]
	v_add_f64 v[23:24], v[51:52], -v[23:24]
	s_waitcnt lgkmcnt(2)
	v_add_f64 v[25:26], v[61:62], -v[0:1]
	v_add_f64 v[27:28], v[63:64], -v[73:74]
	;; [unrolled: 3-line block ×4, first 2 shown]
	v_fma_f64 v[37:38], v[41:42], 2.0, -v[13:14]
	v_fma_f64 v[39:40], v[43:44], 2.0, -v[15:16]
	s_waitcnt lgkmcnt(0)
	; wave barrier
	ds_write_b128 v78, v[13:16] offset:256
	v_fma_f64 v[13:14], v[45:46], 2.0, -v[17:18]
	v_fma_f64 v[15:16], v[47:48], 2.0, -v[19:20]
	;; [unrolled: 1-line block ×10, first 2 shown]
	ds_write_b128 v78, v[37:40]
	ds_write_b128 v79, v[13:16]
	ds_write_b128 v79, v[17:20] offset:256
	ds_write_b128 v80, v[41:44]
	ds_write_b128 v80, v[21:24] offset:256
	;; [unrolled: 2-line block ×5, first 2 shown]
	s_waitcnt lgkmcnt(0)
	; wave barrier
	s_waitcnt lgkmcnt(0)
	global_load_dwordx4 v[5:8], v77, s[8:9] offset:480
	global_load_dwordx4 v[9:12], v77, s[8:9] offset:496
	v_and_b32_e32 v0, 31, v57
	v_lshlrev_b32_e32 v1, 5, v0
	global_load_dwordx4 v[13:16], v1, s[8:9] offset:480
	global_load_dwordx4 v[17:20], v1, s[8:9] offset:496
	v_and_b32_e32 v1, 31, v4
	v_lshlrev_b32_e32 v3, 5, v1
	;; [unrolled: 4-line block ×3, first 2 shown]
	global_load_dwordx4 v[29:32], v37, s[8:9] offset:480
	global_load_dwordx4 v[33:36], v37, s[8:9] offset:496
	v_lshrrev_b32_e32 v37, 5, v56
	v_lshrrev_b32_e32 v38, 5, v57
	;; [unrolled: 1-line block ×3, first 2 shown]
	v_mul_u32_u24_e32 v37, 0x60, v37
	v_lshrrev_b32_e32 v2, 5, v2
	v_mul_u32_u24_e32 v38, 0x60, v38
	v_mul_u32_u24_e32 v4, 0x60, v4
	v_or_b32_e32 v37, v37, v55
	v_mul_u32_u24_e32 v2, 0x60, v2
	v_or_b32_e32 v0, v38, v0
	v_or_b32_e32 v1, v4, v1
	v_lshl_add_u32 v55, v37, 4, 0
	v_or_b32_e32 v4, v2, v3
	v_lshl_add_u32 v85, v0, 4, 0
	v_lshl_add_u32 v86, v1, 4, 0
	ds_read_b128 v[0:3], v60 offset:3584
	ds_read_b128 v[37:40], v60 offset:4480
	;; [unrolled: 1-line block ×8, first 2 shown]
	v_lshl_add_u32 v87, v4, 4, 0
	s_waitcnt vmcnt(7) lgkmcnt(7)
	v_mul_f64 v[53:54], v[2:3], v[7:8]
	s_waitcnt vmcnt(6) lgkmcnt(5)
	v_mul_f64 v[73:74], v[43:44], v[11:12]
	v_mul_f64 v[7:8], v[0:1], v[7:8]
	s_waitcnt vmcnt(5)
	v_mul_f64 v[77:78], v[39:40], v[15:16]
	v_mul_f64 v[15:16], v[37:38], v[15:16]
	s_waitcnt vmcnt(4) lgkmcnt(4)
	v_mul_f64 v[79:80], v[47:48], v[19:20]
	v_mul_f64 v[19:20], v[45:46], v[19:20]
	;; [unrolled: 1-line block ×3, first 2 shown]
	v_fma_f64 v[53:54], v[0:1], v[5:6], v[53:54]
	v_fma_f64 v[41:42], v[41:42], v[9:10], v[73:74]
	s_waitcnt vmcnt(3) lgkmcnt(3)
	v_mul_f64 v[73:74], v[51:52], v[23:24]
	v_mul_f64 v[23:24], v[49:50], v[23:24]
	v_fma_f64 v[39:40], v[39:40], v[13:14], -v[15:16]
	v_fma_f64 v[45:46], v[45:46], v[17:18], v[79:80]
	v_fma_f64 v[16:17], v[47:48], v[17:18], -v[19:20]
	s_waitcnt vmcnt(2) lgkmcnt(1)
	v_mul_f64 v[18:19], v[67:68], v[27:28]
	v_mul_f64 v[27:28], v[65:66], v[27:28]
	v_fma_f64 v[75:76], v[2:3], v[5:6], -v[7:8]
	v_fma_f64 v[43:44], v[43:44], v[9:10], -v[11:12]
	v_fma_f64 v[47:48], v[49:50], v[21:22], v[73:74]
	v_fma_f64 v[20:21], v[51:52], v[21:22], -v[23:24]
	s_waitcnt vmcnt(1)
	v_mul_f64 v[22:23], v[63:64], v[31:32]
	v_mul_f64 v[31:32], v[61:62], v[31:32]
	s_waitcnt vmcnt(0) lgkmcnt(0)
	v_mul_f64 v[49:50], v[71:72], v[35:36]
	v_mul_f64 v[35:36], v[69:70], v[35:36]
	v_fma_f64 v[37:38], v[37:38], v[13:14], v[77:78]
	ds_read_b128 v[0:3], v60
	ds_read_b128 v[4:7], v60 offset:896
	v_fma_f64 v[18:19], v[65:66], v[25:26], v[18:19]
	v_fma_f64 v[24:25], v[67:68], v[25:26], -v[27:28]
	v_fma_f64 v[22:23], v[61:62], v[29:30], v[22:23]
	v_fma_f64 v[26:27], v[63:64], v[29:30], -v[31:32]
	;; [unrolled: 2-line block ×3, first 2 shown]
	v_add_f64 v[32:33], v[53:54], v[41:42]
	v_add_f64 v[34:35], v[75:76], v[43:44]
	s_waitcnt lgkmcnt(1)
	v_add_f64 v[49:50], v[2:3], v[75:76]
	v_add_f64 v[51:52], v[0:1], v[53:54]
	ds_read_b128 v[8:11], v60 offset:1792
	ds_read_b128 v[12:15], v60 offset:2688
	v_add_f64 v[63:64], v[37:38], v[45:46]
	v_add_f64 v[65:66], v[39:40], v[16:17]
	s_waitcnt lgkmcnt(2)
	v_add_f64 v[67:68], v[6:7], v[39:40]
	v_add_f64 v[69:70], v[4:5], v[37:38]
	v_add_f64 v[71:72], v[37:38], -v[45:46]
	v_add_f64 v[36:37], v[47:48], v[18:19]
	v_add_f64 v[73:74], v[20:21], v[24:25]
	v_add_f64 v[61:62], v[75:76], -v[43:44]
	v_add_f64 v[53:54], v[53:54], -v[41:42]
	s_waitcnt lgkmcnt(1)
	v_add_f64 v[75:76], v[10:11], v[20:21]
	v_add_f64 v[77:78], v[8:9], v[47:48]
	v_fma_f64 v[32:33], v[32:33], -0.5, v[0:1]
	v_fma_f64 v[34:35], v[34:35], -0.5, v[2:3]
	v_add_f64 v[81:82], v[22:23], v[28:29]
	v_add_f64 v[83:84], v[26:27], v[30:31]
	;; [unrolled: 1-line block ×4, first 2 shown]
	s_waitcnt lgkmcnt(0)
	v_add_f64 v[41:42], v[14:15], v[26:27]
	v_add_f64 v[43:44], v[12:13], v[22:23]
	v_add_f64 v[39:40], v[39:40], -v[16:17]
	v_fma_f64 v[4:5], v[63:64], -0.5, v[4:5]
	v_fma_f64 v[6:7], v[65:66], -0.5, v[6:7]
	v_add_f64 v[79:80], v[20:21], -v[24:25]
	v_add_f64 v[47:48], v[47:48], -v[18:19]
	;; [unrolled: 1-line block ×3, first 2 shown]
	v_add_f64 v[22:23], v[67:68], v[16:17]
	v_add_f64 v[20:21], v[69:70], v[45:46]
	v_fma_f64 v[16:17], v[36:37], -0.5, v[8:9]
	v_fma_f64 v[45:46], v[73:74], -0.5, v[10:11]
	v_add_f64 v[49:50], v[26:27], -v[30:31]
	v_add_f64 v[26:27], v[75:76], v[24:25]
	v_add_f64 v[24:25], v[77:78], v[18:19]
	v_fma_f64 v[18:19], v[81:82], -0.5, v[12:13]
	v_fma_f64 v[63:64], v[83:84], -0.5, v[14:15]
	v_add_f64 v[10:11], v[41:42], v[30:31]
	v_add_f64 v[8:9], v[43:44], v[28:29]
	v_fma_f64 v[28:29], v[61:62], s[4:5], v[32:33]
	v_fma_f64 v[30:31], v[53:54], s[6:7], v[34:35]
	;; [unrolled: 1-line block ×8, first 2 shown]
	s_waitcnt lgkmcnt(0)
	; wave barrier
	ds_write_b128 v55, v[0:3]
	v_fma_f64 v[0:1], v[79:80], s[4:5], v[16:17]
	v_fma_f64 v[2:3], v[47:48], s[6:7], v[45:46]
	v_fma_f64 v[4:5], v[79:80], s[6:7], v[16:17]
	v_fma_f64 v[6:7], v[47:48], s[4:5], v[45:46]
	v_fma_f64 v[12:13], v[49:50], s[4:5], v[18:19]
	v_fma_f64 v[16:17], v[49:50], s[6:7], v[18:19]
	v_fma_f64 v[14:15], v[51:52], s[6:7], v[63:64]
	v_fma_f64 v[18:19], v[51:52], s[4:5], v[63:64]
	ds_write_b128 v55, v[28:31] offset:512
	ds_write_b128 v55, v[32:35] offset:1024
	ds_write_b128 v85, v[20:23]
	ds_write_b128 v85, v[36:39] offset:512
	ds_write_b128 v85, v[40:43] offset:1024
	ds_write_b128 v86, v[24:27]
	;; [unrolled: 3-line block ×3, first 2 shown]
	ds_write_b128 v87, v[12:15] offset:512
	ds_write_b128 v87, v[16:19] offset:1024
	s_waitcnt lgkmcnt(0)
	; wave barrier
	s_waitcnt lgkmcnt(0)
	ds_read_b128 v[28:31], v60
	ds_read_b128 v[52:55], v60 offset:1536
	ds_read_b128 v[48:51], v60 offset:3072
	;; [unrolled: 1-line block ×6, first 2 shown]
                                        ; implicit-def: $vgpr26_vgpr27
                                        ; implicit-def: $vgpr22_vgpr23
	s_and_saveexec_b64 s[4:5], vcc
	s_cbranch_execz .LBB0_19
; %bb.18:
	ds_read_b128 v[0:3], v60 offset:896
	ds_read_b128 v[4:7], v60 offset:2432
	;; [unrolled: 1-line block ×7, first 2 shown]
.LBB0_19:
	s_or_b64 exec, exec, s[4:5]
	v_mul_u32_u24_e32 v61, 6, v56
	v_lshlrev_b32_e32 v79, 4, v61
	global_load_dwordx4 v[61:64], v79, s[8:9] offset:1552
	global_load_dwordx4 v[65:68], v79, s[8:9] offset:1536
	;; [unrolled: 1-line block ×4, first 2 shown]
	s_mov_b32 s4, 0x37e14327
	s_mov_b32 s10, 0x36b3c0b5
	;; [unrolled: 1-line block ×20, first 2 shown]
	s_waitcnt vmcnt(0) lgkmcnt(5)
	v_mul_f64 v[77:78], v[54:55], v[75:76]
	v_fma_f64 v[77:78], v[52:53], v[73:74], v[77:78]
	v_mul_f64 v[52:53], v[52:53], v[75:76]
	v_fma_f64 v[52:53], v[54:55], v[73:74], -v[52:53]
	s_waitcnt lgkmcnt(4)
	v_mul_f64 v[54:55], v[50:51], v[71:72]
	v_fma_f64 v[54:55], v[48:49], v[69:70], v[54:55]
	v_mul_f64 v[48:49], v[48:49], v[71:72]
	v_fma_f64 v[48:49], v[50:51], v[69:70], -v[48:49]
	s_waitcnt lgkmcnt(3)
	;; [unrolled: 5-line block ×3, first 2 shown]
	v_mul_f64 v[44:45], v[42:43], v[63:64]
	v_fma_f64 v[67:68], v[40:41], v[61:62], v[44:45]
	v_mul_f64 v[40:41], v[40:41], v[63:64]
	v_fma_f64 v[61:62], v[42:43], v[61:62], -v[40:41]
	global_load_dwordx4 v[40:43], v79, s[8:9] offset:1584
	global_load_dwordx4 v[44:47], v79, s[8:9] offset:1568
	s_waitcnt lgkmcnt(0)
	; wave barrier
	s_waitcnt vmcnt(0) lgkmcnt(0)
	v_mul_f64 v[63:64], v[38:39], v[46:47]
	v_fma_f64 v[63:64], v[36:37], v[44:45], v[63:64]
	v_mul_f64 v[36:37], v[36:37], v[46:47]
	v_add_f64 v[46:47], v[54:55], -v[63:64]
	v_fma_f64 v[36:37], v[38:39], v[44:45], -v[36:37]
	v_mul_f64 v[38:39], v[34:35], v[42:43]
	v_add_f64 v[44:45], v[48:49], v[36:37]
	v_fma_f64 v[38:39], v[32:33], v[40:41], v[38:39]
	v_mul_f64 v[32:33], v[32:33], v[42:43]
	v_add_f64 v[42:43], v[54:55], v[63:64]
	v_add_f64 v[36:37], v[48:49], -v[36:37]
	v_add_f64 v[48:49], v[50:51], v[67:68]
	v_add_f64 v[50:51], v[67:68], -v[50:51]
	v_add_f64 v[54:55], v[61:62], -v[65:66]
	v_fma_f64 v[32:33], v[34:35], v[40:41], -v[32:33]
	v_add_f64 v[34:35], v[77:78], v[38:39]
	v_add_f64 v[38:39], v[77:78], -v[38:39]
	v_add_f64 v[69:70], v[50:51], v[46:47]
	v_add_f64 v[71:72], v[54:55], v[36:37]
	v_add_f64 v[73:74], v[50:51], -v[46:47]
	v_add_f64 v[75:76], v[54:55], -v[36:37]
	v_add_f64 v[40:41], v[52:53], v[32:33]
	v_add_f64 v[32:33], v[52:53], -v[32:33]
	v_add_f64 v[52:53], v[65:66], v[61:62]
	v_add_f64 v[61:62], v[42:43], v[34:35]
	v_add_f64 v[65:66], v[42:43], -v[34:35]
	v_add_f64 v[34:35], v[34:35], -v[48:49]
	;; [unrolled: 1-line block ×4, first 2 shown]
	v_add_f64 v[63:64], v[44:45], v[40:41]
	v_add_f64 v[67:68], v[44:45], -v[40:41]
	v_add_f64 v[40:41], v[40:41], -v[52:53]
	;; [unrolled: 1-line block ×3, first 2 shown]
	v_add_f64 v[48:49], v[48:49], v[61:62]
	v_add_f64 v[36:37], v[36:37], -v[32:33]
	v_add_f64 v[50:51], v[38:39], -v[50:51]
	;; [unrolled: 1-line block ×3, first 2 shown]
	v_add_f64 v[52:53], v[52:53], v[63:64]
	v_add_f64 v[38:39], v[69:70], v[38:39]
	;; [unrolled: 1-line block ×3, first 2 shown]
	v_mul_f64 v[34:35], v[34:35], s[4:5]
	v_add_f64 v[28:29], v[28:29], v[48:49]
	v_mul_f64 v[40:41], v[40:41], s[4:5]
	v_mul_f64 v[61:62], v[42:43], s[10:11]
	;; [unrolled: 1-line block ×3, first 2 shown]
	v_add_f64 v[30:31], v[30:31], v[52:53]
	v_mul_f64 v[69:70], v[73:74], s[14:15]
	v_mul_f64 v[71:72], v[75:76], s[14:15]
	;; [unrolled: 1-line block ×4, first 2 shown]
	v_fma_f64 v[48:49], v[48:49], s[12:13], v[28:29]
	v_fma_f64 v[42:43], v[42:43], s[10:11], v[34:35]
	;; [unrolled: 1-line block ×4, first 2 shown]
	v_fma_f64 v[61:62], v[65:66], s[16:17], -v[61:62]
	v_fma_f64 v[63:64], v[67:68], s[16:17], -v[63:64]
	;; [unrolled: 1-line block ×4, first 2 shown]
	v_fma_f64 v[65:66], v[50:51], s[20:21], v[69:70]
	v_fma_f64 v[67:68], v[54:55], s[20:21], v[71:72]
	v_fma_f64 v[50:51], v[50:51], s[24:25], -v[73:74]
	v_fma_f64 v[54:55], v[54:55], s[24:25], -v[75:76]
	;; [unrolled: 1-line block ×4, first 2 shown]
	v_add_f64 v[69:70], v[42:43], v[48:49]
	v_add_f64 v[71:72], v[44:45], v[52:53]
	v_add_f64 v[44:45], v[61:62], v[48:49]
	v_add_f64 v[61:62], v[63:64], v[52:53]
	v_fma_f64 v[63:64], v[38:39], s[22:23], v[65:66]
	v_fma_f64 v[65:66], v[32:33], s[22:23], v[67:68]
	v_add_f64 v[48:49], v[34:35], v[48:49]
	v_add_f64 v[52:53], v[40:41], v[52:53]
	v_fma_f64 v[50:51], v[38:39], s[22:23], v[50:51]
	v_fma_f64 v[54:55], v[32:33], s[22:23], v[54:55]
	v_fma_f64 v[46:47], v[38:39], s[22:23], v[46:47]
	v_fma_f64 v[67:68], v[32:33], s[22:23], v[36:37]
	v_add_f64 v[34:35], v[71:72], -v[63:64]
	v_add_f64 v[32:33], v[65:66], v[69:70]
	v_add_f64 v[38:39], v[52:53], -v[50:51]
	v_add_f64 v[36:37], v[54:55], v[48:49]
	v_add_f64 v[42:43], v[46:47], v[61:62]
	v_add_f64 v[40:41], v[44:45], -v[67:68]
	v_add_f64 v[44:45], v[67:68], v[44:45]
	v_add_f64 v[46:47], v[61:62], -v[46:47]
	v_add_f64 v[48:49], v[48:49], -v[54:55]
	v_add_f64 v[50:51], v[50:51], v[52:53]
	v_add_f64 v[52:53], v[69:70], -v[65:66]
	v_add_f64 v[54:55], v[63:64], v[71:72]
	ds_write_b128 v60, v[28:31]
	ds_write_b128 v60, v[32:35] offset:1536
	ds_write_b128 v60, v[36:39] offset:3072
	;; [unrolled: 1-line block ×6, first 2 shown]
	s_and_saveexec_b64 s[26:27], vcc
	s_cbranch_execz .LBB0_21
; %bb.20:
	v_subrev_u32_e32 v28, 40, v56
	v_cndmask_b32_e32 v28, v28, v57, vcc
	v_mul_i32_i24_e32 v28, 6, v28
	v_mov_b32_e32 v29, 0
	v_lshlrev_b64 v[28:29], 4, v[28:29]
	v_mov_b32_e32 v30, s9
	v_add_co_u32_e32 v52, vcc, s8, v28
	v_addc_co_u32_e32 v53, vcc, v30, v29, vcc
	global_load_dwordx4 v[28:31], v[52:53], off offset:1552
	global_load_dwordx4 v[32:35], v[52:53], off offset:1536
	;; [unrolled: 1-line block ×6, first 2 shown]
	s_waitcnt vmcnt(5)
	v_mul_f64 v[52:53], v[18:19], v[30:31]
	s_waitcnt vmcnt(4)
	v_mul_f64 v[54:55], v[14:15], v[34:35]
	s_waitcnt vmcnt(3)
	v_mul_f64 v[61:62], v[10:11], v[38:39]
	s_waitcnt vmcnt(2)
	v_mul_f64 v[63:64], v[22:23], v[42:43]
	s_waitcnt vmcnt(1)
	v_mul_f64 v[65:66], v[6:7], v[46:47]
	s_waitcnt vmcnt(0)
	v_mul_f64 v[67:68], v[26:27], v[50:51]
	v_mul_f64 v[38:39], v[8:9], v[38:39]
	v_mul_f64 v[42:43], v[20:21], v[42:43]
	;; [unrolled: 1-line block ×6, first 2 shown]
	v_fma_f64 v[8:9], v[8:9], v[36:37], v[61:62]
	v_fma_f64 v[20:21], v[20:21], v[40:41], v[63:64]
	;; [unrolled: 1-line block ×4, first 2 shown]
	v_fma_f64 v[10:11], v[10:11], v[36:37], -v[38:39]
	v_fma_f64 v[22:23], v[22:23], v[40:41], -v[42:43]
	;; [unrolled: 1-line block ×4, first 2 shown]
	v_fma_f64 v[16:17], v[16:17], v[28:29], v[52:53]
	v_fma_f64 v[12:13], v[12:13], v[32:33], v[54:55]
	v_fma_f64 v[14:15], v[14:15], v[32:33], -v[34:35]
	v_fma_f64 v[18:19], v[18:19], v[28:29], -v[30:31]
	v_add_f64 v[30:31], v[8:9], -v[20:21]
	v_add_f64 v[32:33], v[4:5], -v[24:25]
	v_add_f64 v[36:37], v[10:11], v[22:23]
	v_add_f64 v[38:39], v[6:7], v[26:27]
	;; [unrolled: 1-line block ×4, first 2 shown]
	v_add_f64 v[28:29], v[16:17], -v[12:13]
	v_add_f64 v[34:35], v[14:15], v[18:19]
	v_add_f64 v[12:13], v[12:13], v[16:17]
	v_add_f64 v[14:15], v[18:19], -v[14:15]
	v_add_f64 v[10:11], v[10:11], -v[22:23]
	;; [unrolled: 1-line block ×3, first 2 shown]
	v_add_f64 v[26:27], v[36:37], v[38:39]
	v_add_f64 v[42:43], v[8:9], v[4:5]
	;; [unrolled: 1-line block ×3, first 2 shown]
	v_add_f64 v[18:19], v[28:29], -v[30:31]
	v_add_f64 v[20:21], v[32:33], -v[28:29]
	;; [unrolled: 1-line block ×6, first 2 shown]
	v_add_f64 v[26:27], v[34:35], v[26:27]
	v_add_f64 v[12:13], v[12:13], v[42:43]
	v_add_f64 v[30:31], v[30:31], -v[32:33]
	v_add_f64 v[4:5], v[8:9], -v[4:5]
	;; [unrolled: 1-line block ×4, first 2 shown]
	v_add_f64 v[44:45], v[14:15], v[10:11]
	v_add_f64 v[14:15], v[6:7], -v[14:15]
	v_add_f64 v[36:37], v[36:37], -v[38:39]
	v_add_f64 v[10:11], v[16:17], v[32:33]
	v_mul_f64 v[16:17], v[18:19], s[14:15]
	v_mul_f64 v[24:25], v[24:25], s[4:5]
	;; [unrolled: 1-line block ×4, first 2 shown]
	v_add_f64 v[2:3], v[2:3], v[26:27]
	v_add_f64 v[0:1], v[0:1], v[12:13]
	v_mul_f64 v[40:41], v[30:31], s[6:7]
	v_mul_f64 v[42:43], v[8:9], s[6:7]
	;; [unrolled: 1-line block ×4, first 2 shown]
	v_add_f64 v[6:7], v[44:45], v[6:7]
	v_fma_f64 v[44:45], v[20:21], s[20:21], v[16:17]
	v_fma_f64 v[22:23], v[22:23], s[10:11], v[24:25]
	;; [unrolled: 1-line block ×6, first 2 shown]
	v_fma_f64 v[20:21], v[20:21], s[24:25], -v[40:41]
	v_fma_f64 v[24:25], v[36:37], s[18:19], -v[24:25]
	;; [unrolled: 1-line block ×8, first 2 shown]
	v_fma_f64 v[30:31], v[10:11], s[22:23], v[44:45]
	v_fma_f64 v[32:33], v[6:7], s[22:23], v[46:47]
	v_add_f64 v[36:37], v[22:23], v[26:27]
	v_add_f64 v[28:29], v[28:29], v[12:13]
	v_fma_f64 v[20:21], v[10:11], s[22:23], v[20:21]
	v_add_f64 v[22:23], v[24:25], v[26:27]
	v_fma_f64 v[38:39], v[6:7], s[22:23], v[14:15]
	;; [unrolled: 2-line block ×4, first 2 shown]
	v_add_f64 v[4:5], v[4:5], v[12:13]
	v_add_f64 v[26:27], v[36:37], -v[30:31]
	v_add_f64 v[24:25], v[32:33], v[28:29]
	v_add_f64 v[10:11], v[20:21], v[22:23]
	v_add_f64 v[22:23], v[22:23], -v[20:21]
	v_add_f64 v[20:21], v[38:39], v[34:35]
	v_add_f64 v[14:15], v[18:19], -v[16:17]
	;; [unrolled: 2-line block ×5, first 2 shown]
	ds_write_b128 v60, v[0:3] offset:896
	ds_write_b128 v60, v[24:27] offset:2432
	;; [unrolled: 1-line block ×7, first 2 shown]
.LBB0_21:
	s_or_b64 exec, exec, s[26:27]
	s_waitcnt lgkmcnt(0)
	; wave barrier
	s_waitcnt lgkmcnt(0)
	s_and_saveexec_b64 s[4:5], s[0:1]
	s_cbranch_execz .LBB0_23
; %bb.22:
	v_lshl_add_u32 v10, v56, 4, 0
	v_mov_b32_e32 v57, 0
	ds_read_b128 v[0:3], v10
	v_mov_b32_e32 v4, s3
	v_add_co_u32_e32 v11, vcc, s2, v58
	v_addc_co_u32_e32 v12, vcc, v4, v59, vcc
	v_lshlrev_b64 v[4:5], 4, v[56:57]
	v_add_co_u32_e32 v8, vcc, v11, v4
	v_addc_co_u32_e32 v9, vcc, v12, v5, vcc
	ds_read_b128 v[4:7], v10 offset:896
	s_waitcnt lgkmcnt(1)
	global_store_dwordx4 v[8:9], v[0:3], off
	s_nop 0
	v_add_u32_e32 v0, 56, v56
	v_mov_b32_e32 v1, v57
	v_lshlrev_b64 v[0:1], 4, v[0:1]
	v_add_co_u32_e32 v0, vcc, v11, v0
	v_addc_co_u32_e32 v1, vcc, v12, v1, vcc
	s_waitcnt lgkmcnt(0)
	global_store_dwordx4 v[0:1], v[4:7], off
	ds_read_b128 v[0:3], v10 offset:1792
	v_add_u32_e32 v4, 0x70, v56
	v_mov_b32_e32 v5, v57
	v_lshlrev_b64 v[4:5], 4, v[4:5]
	v_add_co_u32_e32 v8, vcc, v11, v4
	v_addc_co_u32_e32 v9, vcc, v12, v5, vcc
	ds_read_b128 v[4:7], v10 offset:2688
	s_waitcnt lgkmcnt(1)
	global_store_dwordx4 v[8:9], v[0:3], off
	s_nop 0
	v_add_u32_e32 v0, 0xa8, v56
	v_mov_b32_e32 v1, v57
	v_lshlrev_b64 v[0:1], 4, v[0:1]
	v_add_co_u32_e32 v0, vcc, v11, v0
	v_addc_co_u32_e32 v1, vcc, v12, v1, vcc
	s_waitcnt lgkmcnt(0)
	global_store_dwordx4 v[0:1], v[4:7], off
	ds_read_b128 v[0:3], v10 offset:3584
	v_add_u32_e32 v4, 0xe0, v56
	v_mov_b32_e32 v5, v57
	;; [unrolled: 17-line block ×5, first 2 shown]
	v_lshlrev_b64 v[4:5], 4, v[4:5]
	v_add_u32_e32 v56, 0x268, v56
	v_add_co_u32_e32 v8, vcc, v11, v4
	v_addc_co_u32_e32 v9, vcc, v12, v5, vcc
	ds_read_b128 v[4:7], v10 offset:9856
	s_waitcnt lgkmcnt(1)
	global_store_dwordx4 v[8:9], v[0:3], off
	s_nop 0
	v_lshlrev_b64 v[0:1], 4, v[56:57]
	v_add_co_u32_e32 v0, vcc, v11, v0
	v_addc_co_u32_e32 v1, vcc, v12, v1, vcc
	s_waitcnt lgkmcnt(0)
	global_store_dwordx4 v[0:1], v[4:7], off
.LBB0_23:
	s_endpgm
	.section	.rodata,"a",@progbits
	.p2align	6, 0x0
	.amdhsa_kernel fft_rtc_back_len672_factors_2_2_2_2_2_3_7_wgs_56_tpt_56_halfLds_dp_ip_CI_unitstride_sbrr_C2R_dirReg
		.amdhsa_group_segment_fixed_size 0
		.amdhsa_private_segment_fixed_size 0
		.amdhsa_kernarg_size 88
		.amdhsa_user_sgpr_count 6
		.amdhsa_user_sgpr_private_segment_buffer 1
		.amdhsa_user_sgpr_dispatch_ptr 0
		.amdhsa_user_sgpr_queue_ptr 0
		.amdhsa_user_sgpr_kernarg_segment_ptr 1
		.amdhsa_user_sgpr_dispatch_id 0
		.amdhsa_user_sgpr_flat_scratch_init 0
		.amdhsa_user_sgpr_private_segment_size 0
		.amdhsa_uses_dynamic_stack 0
		.amdhsa_system_sgpr_private_segment_wavefront_offset 0
		.amdhsa_system_sgpr_workgroup_id_x 1
		.amdhsa_system_sgpr_workgroup_id_y 0
		.amdhsa_system_sgpr_workgroup_id_z 0
		.amdhsa_system_sgpr_workgroup_info 0
		.amdhsa_system_vgpr_workitem_id 0
		.amdhsa_next_free_vgpr 89
		.amdhsa_next_free_sgpr 28
		.amdhsa_reserve_vcc 1
		.amdhsa_reserve_flat_scratch 0
		.amdhsa_float_round_mode_32 0
		.amdhsa_float_round_mode_16_64 0
		.amdhsa_float_denorm_mode_32 3
		.amdhsa_float_denorm_mode_16_64 3
		.amdhsa_dx10_clamp 1
		.amdhsa_ieee_mode 1
		.amdhsa_fp16_overflow 0
		.amdhsa_exception_fp_ieee_invalid_op 0
		.amdhsa_exception_fp_denorm_src 0
		.amdhsa_exception_fp_ieee_div_zero 0
		.amdhsa_exception_fp_ieee_overflow 0
		.amdhsa_exception_fp_ieee_underflow 0
		.amdhsa_exception_fp_ieee_inexact 0
		.amdhsa_exception_int_div_zero 0
	.end_amdhsa_kernel
	.text
.Lfunc_end0:
	.size	fft_rtc_back_len672_factors_2_2_2_2_2_3_7_wgs_56_tpt_56_halfLds_dp_ip_CI_unitstride_sbrr_C2R_dirReg, .Lfunc_end0-fft_rtc_back_len672_factors_2_2_2_2_2_3_7_wgs_56_tpt_56_halfLds_dp_ip_CI_unitstride_sbrr_C2R_dirReg
                                        ; -- End function
	.section	.AMDGPU.csdata,"",@progbits
; Kernel info:
; codeLenInByte = 10316
; NumSgprs: 32
; NumVgprs: 89
; ScratchSize: 0
; MemoryBound: 0
; FloatMode: 240
; IeeeMode: 1
; LDSByteSize: 0 bytes/workgroup (compile time only)
; SGPRBlocks: 3
; VGPRBlocks: 22
; NumSGPRsForWavesPerEU: 32
; NumVGPRsForWavesPerEU: 89
; Occupancy: 2
; WaveLimiterHint : 1
; COMPUTE_PGM_RSRC2:SCRATCH_EN: 0
; COMPUTE_PGM_RSRC2:USER_SGPR: 6
; COMPUTE_PGM_RSRC2:TRAP_HANDLER: 0
; COMPUTE_PGM_RSRC2:TGID_X_EN: 1
; COMPUTE_PGM_RSRC2:TGID_Y_EN: 0
; COMPUTE_PGM_RSRC2:TGID_Z_EN: 0
; COMPUTE_PGM_RSRC2:TIDIG_COMP_CNT: 0
	.type	__hip_cuid_e15d683d0f20aa05,@object ; @__hip_cuid_e15d683d0f20aa05
	.section	.bss,"aw",@nobits
	.globl	__hip_cuid_e15d683d0f20aa05
__hip_cuid_e15d683d0f20aa05:
	.byte	0                               ; 0x0
	.size	__hip_cuid_e15d683d0f20aa05, 1

	.ident	"AMD clang version 19.0.0git (https://github.com/RadeonOpenCompute/llvm-project roc-6.4.0 25133 c7fe45cf4b819c5991fe208aaa96edf142730f1d)"
	.section	".note.GNU-stack","",@progbits
	.addrsig
	.addrsig_sym __hip_cuid_e15d683d0f20aa05
	.amdgpu_metadata
---
amdhsa.kernels:
  - .args:
      - .actual_access:  read_only
        .address_space:  global
        .offset:         0
        .size:           8
        .value_kind:     global_buffer
      - .offset:         8
        .size:           8
        .value_kind:     by_value
      - .actual_access:  read_only
        .address_space:  global
        .offset:         16
        .size:           8
        .value_kind:     global_buffer
      - .actual_access:  read_only
        .address_space:  global
        .offset:         24
        .size:           8
        .value_kind:     global_buffer
      - .offset:         32
        .size:           8
        .value_kind:     by_value
      - .actual_access:  read_only
        .address_space:  global
        .offset:         40
        .size:           8
        .value_kind:     global_buffer
      - .actual_access:  read_only
        .address_space:  global
        .offset:         48
        .size:           8
        .value_kind:     global_buffer
      - .offset:         56
        .size:           4
        .value_kind:     by_value
      - .actual_access:  read_only
        .address_space:  global
        .offset:         64
        .size:           8
        .value_kind:     global_buffer
      - .actual_access:  read_only
        .address_space:  global
        .offset:         72
        .size:           8
        .value_kind:     global_buffer
      - .address_space:  global
        .offset:         80
        .size:           8
        .value_kind:     global_buffer
    .group_segment_fixed_size: 0
    .kernarg_segment_align: 8
    .kernarg_segment_size: 88
    .language:       OpenCL C
    .language_version:
      - 2
      - 0
    .max_flat_workgroup_size: 56
    .name:           fft_rtc_back_len672_factors_2_2_2_2_2_3_7_wgs_56_tpt_56_halfLds_dp_ip_CI_unitstride_sbrr_C2R_dirReg
    .private_segment_fixed_size: 0
    .sgpr_count:     32
    .sgpr_spill_count: 0
    .symbol:         fft_rtc_back_len672_factors_2_2_2_2_2_3_7_wgs_56_tpt_56_halfLds_dp_ip_CI_unitstride_sbrr_C2R_dirReg.kd
    .uniform_work_group_size: 1
    .uses_dynamic_stack: false
    .vgpr_count:     89
    .vgpr_spill_count: 0
    .wavefront_size: 64
amdhsa.target:   amdgcn-amd-amdhsa--gfx906
amdhsa.version:
  - 1
  - 2
...

	.end_amdgpu_metadata
